;; amdgpu-corpus repo=ROCm/rocFFT kind=compiled arch=gfx906 opt=O3
	.text
	.amdgcn_target "amdgcn-amd-amdhsa--gfx906"
	.amdhsa_code_object_version 6
	.protected	fft_rtc_fwd_len588_factors_7_3_4_7_wgs_252_tpt_84_half_ip_CI_unitstride_sbrr_R2C_dirReg ; -- Begin function fft_rtc_fwd_len588_factors_7_3_4_7_wgs_252_tpt_84_half_ip_CI_unitstride_sbrr_R2C_dirReg
	.globl	fft_rtc_fwd_len588_factors_7_3_4_7_wgs_252_tpt_84_half_ip_CI_unitstride_sbrr_R2C_dirReg
	.p2align	8
	.type	fft_rtc_fwd_len588_factors_7_3_4_7_wgs_252_tpt_84_half_ip_CI_unitstride_sbrr_R2C_dirReg,@function
fft_rtc_fwd_len588_factors_7_3_4_7_wgs_252_tpt_84_half_ip_CI_unitstride_sbrr_R2C_dirReg: ; @fft_rtc_fwd_len588_factors_7_3_4_7_wgs_252_tpt_84_half_ip_CI_unitstride_sbrr_R2C_dirReg
; %bb.0:
	s_load_dwordx2 s[2:3], s[4:5], 0x50
	s_load_dwordx4 s[8:11], s[4:5], 0x0
	s_load_dwordx2 s[12:13], s[4:5], 0x18
	v_mul_u32_u24_e32 v1, 0x30d, v0
	v_lshrrev_b32_e32 v1, 16, v1
	v_mad_u64_u32 v[1:2], s[0:1], s6, 3, v[1:2]
	v_mov_b32_e32 v5, 0
	s_waitcnt lgkmcnt(0)
	v_cmp_lt_u64_e64 s[0:1], s[10:11], 2
	v_mov_b32_e32 v2, v5
	v_mov_b32_e32 v3, 0
	;; [unrolled: 1-line block ×3, first 2 shown]
	s_and_b64 vcc, exec, s[0:1]
	v_mov_b32_e32 v4, 0
	v_mov_b32_e32 v9, v1
	s_cbranch_vccnz .LBB0_8
; %bb.1:
	s_load_dwordx2 s[0:1], s[4:5], 0x10
	s_add_u32 s6, s12, 8
	s_addc_u32 s7, s13, 0
	v_mov_b32_e32 v3, 0
	v_mov_b32_e32 v8, v2
	s_waitcnt lgkmcnt(0)
	s_add_u32 s16, s0, 8
	s_mov_b64 s[14:15], 1
	v_mov_b32_e32 v4, 0
	s_addc_u32 s17, s1, 0
	v_mov_b32_e32 v7, v1
.LBB0_2:                                ; =>This Inner Loop Header: Depth=1
	s_load_dwordx2 s[18:19], s[16:17], 0x0
                                        ; implicit-def: $vgpr9_vgpr10
	s_waitcnt lgkmcnt(0)
	v_or_b32_e32 v6, s19, v8
	v_cmp_ne_u64_e32 vcc, 0, v[5:6]
	s_and_saveexec_b64 s[0:1], vcc
	s_xor_b64 s[20:21], exec, s[0:1]
	s_cbranch_execz .LBB0_4
; %bb.3:                                ;   in Loop: Header=BB0_2 Depth=1
	v_cvt_f32_u32_e32 v2, s18
	v_cvt_f32_u32_e32 v6, s19
	s_sub_u32 s0, 0, s18
	s_subb_u32 s1, 0, s19
	v_mac_f32_e32 v2, 0x4f800000, v6
	v_rcp_f32_e32 v2, v2
	v_mul_f32_e32 v2, 0x5f7ffffc, v2
	v_mul_f32_e32 v6, 0x2f800000, v2
	v_trunc_f32_e32 v6, v6
	v_mac_f32_e32 v2, 0xcf800000, v6
	v_cvt_u32_f32_e32 v6, v6
	v_cvt_u32_f32_e32 v2, v2
	v_mul_lo_u32 v9, s0, v6
	v_mul_hi_u32 v10, s0, v2
	v_mul_lo_u32 v12, s1, v2
	v_mul_lo_u32 v11, s0, v2
	v_add_u32_e32 v9, v10, v9
	v_add_u32_e32 v9, v9, v12
	v_mul_hi_u32 v10, v2, v11
	v_mul_lo_u32 v12, v2, v9
	v_mul_hi_u32 v14, v2, v9
	v_mul_hi_u32 v13, v6, v11
	v_mul_lo_u32 v11, v6, v11
	v_mul_hi_u32 v15, v6, v9
	v_add_co_u32_e32 v10, vcc, v10, v12
	v_addc_co_u32_e32 v12, vcc, 0, v14, vcc
	v_mul_lo_u32 v9, v6, v9
	v_add_co_u32_e32 v10, vcc, v10, v11
	v_addc_co_u32_e32 v10, vcc, v12, v13, vcc
	v_addc_co_u32_e32 v11, vcc, 0, v15, vcc
	v_add_co_u32_e32 v9, vcc, v10, v9
	v_addc_co_u32_e32 v10, vcc, 0, v11, vcc
	v_add_co_u32_e32 v2, vcc, v2, v9
	v_addc_co_u32_e32 v6, vcc, v6, v10, vcc
	v_mul_lo_u32 v9, s0, v6
	v_mul_hi_u32 v10, s0, v2
	v_mul_lo_u32 v11, s1, v2
	v_mul_lo_u32 v12, s0, v2
	v_add_u32_e32 v9, v10, v9
	v_add_u32_e32 v9, v9, v11
	v_mul_lo_u32 v13, v2, v9
	v_mul_hi_u32 v14, v2, v12
	v_mul_hi_u32 v15, v2, v9
	;; [unrolled: 1-line block ×3, first 2 shown]
	v_mul_lo_u32 v12, v6, v12
	v_mul_hi_u32 v10, v6, v9
	v_add_co_u32_e32 v13, vcc, v14, v13
	v_addc_co_u32_e32 v14, vcc, 0, v15, vcc
	v_mul_lo_u32 v9, v6, v9
	v_add_co_u32_e32 v12, vcc, v13, v12
	v_addc_co_u32_e32 v11, vcc, v14, v11, vcc
	v_addc_co_u32_e32 v10, vcc, 0, v10, vcc
	v_add_co_u32_e32 v9, vcc, v11, v9
	v_addc_co_u32_e32 v10, vcc, 0, v10, vcc
	v_add_co_u32_e32 v2, vcc, v2, v9
	v_addc_co_u32_e32 v6, vcc, v6, v10, vcc
	v_mad_u64_u32 v[9:10], s[0:1], v7, v6, 0
	v_mul_hi_u32 v11, v7, v2
	v_add_co_u32_e32 v13, vcc, v11, v9
	v_addc_co_u32_e32 v14, vcc, 0, v10, vcc
	v_mad_u64_u32 v[9:10], s[0:1], v8, v2, 0
	v_mad_u64_u32 v[11:12], s[0:1], v8, v6, 0
	v_add_co_u32_e32 v2, vcc, v13, v9
	v_addc_co_u32_e32 v2, vcc, v14, v10, vcc
	v_addc_co_u32_e32 v6, vcc, 0, v12, vcc
	v_add_co_u32_e32 v2, vcc, v2, v11
	v_addc_co_u32_e32 v6, vcc, 0, v6, vcc
	v_mul_lo_u32 v11, s19, v2
	v_mul_lo_u32 v12, s18, v6
	v_mad_u64_u32 v[9:10], s[0:1], s18, v2, 0
	v_add3_u32 v10, v10, v12, v11
	v_sub_u32_e32 v11, v8, v10
	v_mov_b32_e32 v12, s19
	v_sub_co_u32_e32 v9, vcc, v7, v9
	v_subb_co_u32_e64 v11, s[0:1], v11, v12, vcc
	v_subrev_co_u32_e64 v12, s[0:1], s18, v9
	v_subbrev_co_u32_e64 v11, s[0:1], 0, v11, s[0:1]
	v_cmp_le_u32_e64 s[0:1], s19, v11
	v_cndmask_b32_e64 v13, 0, -1, s[0:1]
	v_cmp_le_u32_e64 s[0:1], s18, v12
	v_cndmask_b32_e64 v12, 0, -1, s[0:1]
	v_cmp_eq_u32_e64 s[0:1], s19, v11
	v_cndmask_b32_e64 v11, v13, v12, s[0:1]
	v_add_co_u32_e64 v12, s[0:1], 2, v2
	v_addc_co_u32_e64 v13, s[0:1], 0, v6, s[0:1]
	v_add_co_u32_e64 v14, s[0:1], 1, v2
	v_addc_co_u32_e64 v15, s[0:1], 0, v6, s[0:1]
	v_subb_co_u32_e32 v10, vcc, v8, v10, vcc
	v_cmp_ne_u32_e64 s[0:1], 0, v11
	v_cmp_le_u32_e32 vcc, s19, v10
	v_cndmask_b32_e64 v11, v15, v13, s[0:1]
	v_cndmask_b32_e64 v13, 0, -1, vcc
	v_cmp_le_u32_e32 vcc, s18, v9
	v_cndmask_b32_e64 v9, 0, -1, vcc
	v_cmp_eq_u32_e32 vcc, s19, v10
	v_cndmask_b32_e32 v9, v13, v9, vcc
	v_cmp_ne_u32_e32 vcc, 0, v9
	v_cndmask_b32_e32 v10, v6, v11, vcc
	v_cndmask_b32_e64 v6, v14, v12, s[0:1]
	v_cndmask_b32_e32 v9, v2, v6, vcc
.LBB0_4:                                ;   in Loop: Header=BB0_2 Depth=1
	s_andn2_saveexec_b64 s[0:1], s[20:21]
	s_cbranch_execz .LBB0_6
; %bb.5:                                ;   in Loop: Header=BB0_2 Depth=1
	v_cvt_f32_u32_e32 v2, s18
	s_sub_i32 s20, 0, s18
	v_rcp_iflag_f32_e32 v2, v2
	v_mul_f32_e32 v2, 0x4f7ffffe, v2
	v_cvt_u32_f32_e32 v2, v2
	v_mul_lo_u32 v6, s20, v2
	v_mul_hi_u32 v6, v2, v6
	v_add_u32_e32 v2, v2, v6
	v_mul_hi_u32 v2, v7, v2
	v_mul_lo_u32 v6, v2, s18
	v_add_u32_e32 v9, 1, v2
	v_sub_u32_e32 v6, v7, v6
	v_subrev_u32_e32 v10, s18, v6
	v_cmp_le_u32_e32 vcc, s18, v6
	v_cndmask_b32_e32 v6, v6, v10, vcc
	v_cndmask_b32_e32 v2, v2, v9, vcc
	v_add_u32_e32 v9, 1, v2
	v_cmp_le_u32_e32 vcc, s18, v6
	v_cndmask_b32_e32 v9, v2, v9, vcc
	v_mov_b32_e32 v10, v5
.LBB0_6:                                ;   in Loop: Header=BB0_2 Depth=1
	s_or_b64 exec, exec, s[0:1]
	v_mul_lo_u32 v2, v10, s18
	v_mul_lo_u32 v6, v9, s19
	v_mad_u64_u32 v[11:12], s[0:1], v9, s18, 0
	s_load_dwordx2 s[0:1], s[6:7], 0x0
	s_add_u32 s14, s14, 1
	v_add3_u32 v2, v12, v6, v2
	v_sub_co_u32_e32 v6, vcc, v7, v11
	v_subb_co_u32_e32 v2, vcc, v8, v2, vcc
	s_waitcnt lgkmcnt(0)
	v_mul_lo_u32 v2, s0, v2
	v_mul_lo_u32 v7, s1, v6
	v_mad_u64_u32 v[3:4], s[0:1], s0, v6, v[3:4]
	s_addc_u32 s15, s15, 0
	s_add_u32 s6, s6, 8
	v_add3_u32 v4, v7, v4, v2
	v_mov_b32_e32 v6, s10
	v_mov_b32_e32 v7, s11
	s_addc_u32 s7, s7, 0
	v_cmp_ge_u64_e32 vcc, s[14:15], v[6:7]
	s_add_u32 s16, s16, 8
	s_addc_u32 s17, s17, 0
	s_cbranch_vccnz .LBB0_8
; %bb.7:                                ;   in Loop: Header=BB0_2 Depth=1
	v_mov_b32_e32 v7, v9
	v_mov_b32_e32 v8, v10
	s_branch .LBB0_2
.LBB0_8:
	s_lshl_b64 s[0:1], s[10:11], 3
	s_add_u32 s0, s12, s0
	s_addc_u32 s1, s13, s1
	s_load_dwordx2 s[0:1], s[0:1], 0x0
	s_mov_b32 s6, 0xaaaaaaab
	v_mul_hi_u32 v5, v1, s6
	s_waitcnt lgkmcnt(0)
	v_mul_lo_u32 v6, s0, v10
	v_mul_lo_u32 v7, s1, v9
	v_mad_u64_u32 v[2:3], s[0:1], s0, v9, v[3:4]
	s_load_dwordx2 s[0:1], s[4:5], 0x20
	s_mov_b32 s4, 0x30c30c4
	v_lshrrev_b32_e32 v4, 1, v5
	v_mul_hi_u32 v5, v0, s4
	v_lshl_add_u32 v4, v4, 1, v4
	v_sub_u32_e32 v1, v1, v4
	s_waitcnt lgkmcnt(0)
	v_cmp_gt_u64_e32 vcc, s[0:1], v[9:10]
	v_cmp_le_u64_e64 s[0:1], s[0:1], v[9:10]
	v_mul_u32_u24_e32 v4, 0x54, v5
	v_add3_u32 v3, v7, v3, v6
	v_sub_u32_e32 v0, v0, v4
                                        ; implicit-def: $vgpr4
                                        ; implicit-def: $vgpr6
	s_and_saveexec_b64 s[4:5], s[0:1]
	s_xor_b64 s[0:1], exec, s[4:5]
; %bb.9:
	v_add_u32_e32 v4, 0x54, v0
	v_add_u32_e32 v6, 0xa8, v0
; %bb.10:
	s_or_saveexec_b64 s[4:5], s[0:1]
	v_mul_u32_u24_e32 v1, 0x24d, v1
	v_lshlrev_b64 v[2:3], 2, v[2:3]
	v_lshlrev_b32_e32 v16, 2, v1
	v_lshlrev_b32_e32 v5, 2, v0
	s_xor_b64 exec, exec, s[4:5]
	s_cbranch_execz .LBB0_12
; %bb.11:
	v_mov_b32_e32 v1, 0
	v_mov_b32_e32 v4, s3
	v_add_co_u32_e64 v8, s[0:1], s2, v2
	v_lshlrev_b64 v[6:7], 2, v[0:1]
	v_addc_co_u32_e64 v4, s[0:1], v4, v3, s[0:1]
	v_add_co_u32_e64 v6, s[0:1], v8, v6
	v_addc_co_u32_e64 v7, s[0:1], v4, v7, s[0:1]
	global_load_dword v1, v[6:7], off
	global_load_dword v8, v[6:7], off offset:336
	global_load_dword v9, v[6:7], off offset:672
	;; [unrolled: 1-line block ×6, first 2 shown]
	v_add3_u32 v7, 0, v16, v5
	v_add_u32_e32 v4, 0x54, v0
	v_add_u32_e32 v6, 0xa8, v0
	;; [unrolled: 1-line block ×3, first 2 shown]
	s_waitcnt vmcnt(5)
	ds_write2_b32 v7, v1, v8 offset1:84
	s_waitcnt vmcnt(3)
	ds_write2_b32 v7, v9, v10 offset0:168 offset1:252
	s_waitcnt vmcnt(1)
	ds_write2_b32 v14, v11, v12 offset0:80 offset1:164
	s_waitcnt vmcnt(0)
	ds_write_b32 v7, v13 offset:2016
.LBB0_12:
	s_or_b64 exec, exec, s[4:5]
	v_add3_u32 v1, 0, v5, v16
	v_add_u32_e32 v15, 0x400, v1
	s_waitcnt lgkmcnt(0)
	s_barrier
	ds_read2_b32 v[7:8], v1 offset0:84 offset1:168
	ds_read2_b32 v[9:10], v15 offset0:164 offset1:248
	v_add_u32_e32 v17, 0x200, v1
	ds_read2_b32 v[11:12], v17 offset0:124 offset1:208
	v_add_u32_e32 v14, 0, v16
	v_add_u32_e32 v13, v14, v5
	s_waitcnt lgkmcnt(1)
	v_pk_add_f16 v19, v8, v9
	v_pk_add_f16 v8, v8, v9 neg_lo:[0,1] neg_hi:[0,1]
	ds_read_b32 v9, v13
	v_pk_add_f16 v18, v7, v10
	v_pk_add_f16 v7, v7, v10 neg_lo:[0,1] neg_hi:[0,1]
	s_waitcnt lgkmcnt(1)
	v_pk_add_f16 v10, v11, v12
	v_pk_add_f16 v11, v12, v11 neg_lo:[0,1] neg_hi:[0,1]
	v_pk_add_f16 v12, v19, v18
	v_pk_add_f16 v20, v19, v18 neg_lo:[0,1] neg_hi:[0,1]
	v_pk_add_f16 v18, v18, v10 neg_lo:[0,1] neg_hi:[0,1]
	v_pk_add_f16 v21, v11, v8
	s_movk_i32 s0, 0x3a52
	v_pk_add_f16 v12, v10, v12
	v_pk_add_f16 v21, v21, v7
	v_pk_add_f16 v22, v7, v11 neg_lo:[0,1] neg_hi:[0,1]
	v_pk_add_f16 v7, v8, v7 neg_lo:[0,1] neg_hi:[0,1]
	v_pk_mul_f16 v18, v18, s0 op_sel_hi:[1,0]
	s_movk_i32 s0, 0x39e0
	s_movk_i32 s1, 0x3b00
	s_waitcnt lgkmcnt(0)
	v_pk_add_f16 v9, v9, v12
	v_pk_mul_f16 v20, v20, s0 op_sel_hi:[1,0]
	s_movk_i32 s0, 0x3574
	v_pk_mul_f16 v7, v7, s1 op_sel_hi:[1,0]
	s_mov_b32 s1, 0xbcab
	v_pk_add_f16 v10, v10, v19 neg_lo:[0,1] neg_hi:[0,1]
	v_pk_add_f16 v8, v11, v8 neg_lo:[0,1] neg_hi:[0,1]
	s_movk_i32 s4, 0x2b26
	s_mov_b32 s5, 0xb846
	v_pk_fma_f16 v12, v12, s1, v9 op_sel_hi:[1,0,1]
	v_pk_add_f16 v23, v18, v20 op_sel:[1,1] op_sel_hi:[0,0] neg_lo:[1,1] neg_hi:[1,1]
	s_movk_i32 s1, 0x370e
	v_pk_fma_f16 v24, v22, s0, v7 op_sel_hi:[1,0,1] neg_lo:[1,0,1] neg_hi:[1,0,1]
	v_pk_fma_f16 v11, v10, s4, v20 op_sel_hi:[1,0,1] neg_lo:[1,0,0] neg_hi:[1,0,0]
	;; [unrolled: 1-line block ×3, first 2 shown]
	v_pk_add_f16 v23, v23, v12 op_sel:[0,1] op_sel_hi:[1,0]
	v_pk_fma_f16 v24, v21, s1, v24 op_sel_hi:[1,0,1]
	v_pk_add_f16 v11, v11, v12
	v_pk_fma_f16 v7, v21, s1, v7 op_sel_hi:[1,0,1]
	v_pk_add_f16 v25, v23, v24
	v_pk_add_f16 v23, v23, v24 neg_lo:[0,1] neg_hi:[0,1]
	v_pk_add_f16 v19, v11, v7 op_sel:[0,1] op_sel_hi:[1,0] neg_lo:[0,1] neg_hi:[0,1]
	v_pk_add_f16 v7, v11, v7 op_sel:[0,1] op_sel_hi:[1,0]
	s_mov_b32 s6, 0xffff
	v_mad_u32_u24 v11, v0, 24, v1
	v_bfi_b32 v24, s6, v19, v7
	v_bfi_b32 v7, s6, v7, v19
	v_alignbit_b32 v19, v25, v23, 16
	s_barrier
	ds_write2_b32 v11, v7, v19 offset0:4 offset1:5
	v_pk_fma_f16 v7, v10, s4, v18 op_sel_hi:[1,0,1]
	v_pk_mul_f16 v10, v22, s0 op_sel_hi:[1,0]
	v_pk_fma_f16 v8, v8, s5, v10 op_sel_hi:[1,0,1]
	v_pk_add_f16 v7, v7, v12
	v_pk_fma_f16 v8, v21, s1, v8 op_sel_hi:[1,0,1]
	v_pk_add_f16 v12, v7, v8 op_sel:[0,1] op_sel_hi:[1,0]
	v_pk_add_f16 v18, v7, v8 op_sel:[0,1] op_sel_hi:[1,0] neg_lo:[0,1] neg_hi:[0,1]
	v_alignbit_b32 v20, v23, v25, 16
	v_bfi_b32 v7, s6, v18, v12
	v_bfi_b32 v8, s6, v12, v18
	ds_write2_b32 v11, v20, v24 offset0:2 offset1:3
	ds_write2_b32 v11, v9, v8 offset1:1
	ds_write_b32 v11, v7 offset:24
	s_waitcnt lgkmcnt(0)
	s_barrier
	ds_read2_b32 v[7:8], v17 offset0:68 offset1:152
	ds_read2_b32 v[9:10], v15 offset0:136 offset1:220
	v_lshl_add_u32 v15, v4, 2, v14
	ds_read_b32 v22, v13
	ds_read_u16 v21, v13 offset:2
	ds_read_b32 v20, v15
	v_cmp_gt_u32_e64 s[0:1], 28, v0
	v_lshrrev_b32_e32 v19, 16, v12
	v_lshlrev_b32_e32 v17, 2, v6
                                        ; implicit-def: $vgpr23
                                        ; implicit-def: $vgpr24
                                        ; implicit-def: $vgpr12
	s_and_saveexec_b64 s[4:5], s[0:1]
	s_cbranch_execz .LBB0_14
; %bb.13:
	v_add3_u32 v11, 0, v17, v16
	ds_read_b32 v18, v11
	v_add_u32_e32 v11, 0x500, v1
	ds_read2_b32 v[11:12], v11 offset0:44 offset1:240
	s_waitcnt lgkmcnt(1)
	v_lshrrev_b32_e32 v19, 16, v18
	s_waitcnt lgkmcnt(0)
	v_lshrrev_b32_e32 v24, 16, v11
	v_lshrrev_b32_e32 v23, 16, v12
.LBB0_14:
	s_or_b64 exec, exec, s[4:5]
	v_mov_b32_e32 v25, 37
	v_mul_lo_u16_sdwa v26, v0, v25 dst_sel:DWORD dst_unused:UNUSED_PAD src0_sel:BYTE_0 src1_sel:DWORD
	v_sub_u16_sdwa v27, v0, v26 dst_sel:DWORD dst_unused:UNUSED_PAD src0_sel:DWORD src1_sel:BYTE_1
	v_lshrrev_b16_e32 v27, 1, v27
	v_and_b32_e32 v27, 0x7f, v27
	v_add_u16_sdwa v26, v27, v26 dst_sel:DWORD dst_unused:UNUSED_PAD src0_sel:DWORD src1_sel:BYTE_1
	v_lshrrev_b16_e32 v34, 2, v26
	v_mul_lo_u16_sdwa v26, v4, v25 dst_sel:DWORD dst_unused:UNUSED_PAD src0_sel:BYTE_0 src1_sel:DWORD
	v_sub_u16_sdwa v27, v4, v26 dst_sel:DWORD dst_unused:UNUSED_PAD src0_sel:DWORD src1_sel:BYTE_1
	v_lshrrev_b16_e32 v27, 1, v27
	v_and_b32_e32 v27, 0x7f, v27
	v_mul_lo_u16_sdwa v25, v6, v25 dst_sel:DWORD dst_unused:UNUSED_PAD src0_sel:BYTE_0 src1_sel:DWORD
	v_mul_lo_u16_e32 v28, 7, v34
	v_add_u16_sdwa v26, v27, v26 dst_sel:DWORD dst_unused:UNUSED_PAD src0_sel:DWORD src1_sel:BYTE_1
	v_sub_u16_sdwa v27, v6, v25 dst_sel:DWORD dst_unused:UNUSED_PAD src0_sel:DWORD src1_sel:BYTE_1
	v_sub_u16_e32 v35, v0, v28
	v_mov_b32_e32 v32, 3
	v_lshrrev_b16_e32 v27, 1, v27
	v_lshrrev_b16_e32 v36, 2, v26
	v_lshlrev_b32_sdwa v26, v32, v35 dst_sel:DWORD dst_unused:UNUSED_PAD src0_sel:DWORD src1_sel:BYTE_0
	v_and_b32_e32 v27, 0x7f, v27
	global_load_dwordx2 v[28:29], v26, s[8:9]
	v_mul_lo_u16_e32 v26, 7, v36
	v_sub_u16_e32 v37, v4, v26
	v_add_u16_sdwa v25, v27, v25 dst_sel:DWORD dst_unused:UNUSED_PAD src0_sel:DWORD src1_sel:BYTE_1
	v_lshlrev_b32_sdwa v26, v32, v37 dst_sel:DWORD dst_unused:UNUSED_PAD src0_sel:DWORD src1_sel:BYTE_0
	v_lshrrev_b16_e32 v25, 2, v25
	global_load_dwordx2 v[30:31], v26, s[8:9]
	v_mul_lo_u16_e32 v26, 7, v25
	v_sub_u16_e32 v26, v6, v26
	v_lshlrev_b32_sdwa v27, v32, v26 dst_sel:DWORD dst_unused:UNUSED_PAD src0_sel:DWORD src1_sel:BYTE_0
	global_load_dwordx2 v[32:33], v27, s[8:9]
	s_movk_i32 s6, 0x54
	v_mov_b32_e32 v27, 2
	s_waitcnt lgkmcnt(4)
	v_lshrrev_b32_e32 v38, 16, v7
	s_waitcnt lgkmcnt(3)
	v_lshrrev_b32_e32 v39, 16, v9
	v_mad_u32_u24 v34, v34, s6, 0
	v_lshlrev_b32_sdwa v35, v27, v35 dst_sel:DWORD dst_unused:UNUSED_PAD src0_sel:DWORD src1_sel:BYTE_0
	v_lshrrev_b32_e32 v41, 16, v10
	v_add3_u32 v34, v34, v35, v16
	v_lshrrev_b32_e32 v40, 16, v8
	s_movk_i32 s4, 0x3aee
	s_mov_b32 s5, 0xbaee
	s_waitcnt lgkmcnt(0)
	v_lshrrev_b32_e32 v42, 16, v20
	s_waitcnt vmcnt(0)
	s_barrier
	v_mul_f16_sdwa v35, v28, v7 dst_sel:DWORD dst_unused:UNUSED_PAD src0_sel:WORD_1 src1_sel:DWORD
	v_mul_f16_sdwa v43, v28, v38 dst_sel:DWORD dst_unused:UNUSED_PAD src0_sel:WORD_1 src1_sel:DWORD
	;; [unrolled: 1-line block ×4, first 2 shown]
	v_fma_f16 v35, v28, v38, v35
	v_fma_f16 v39, v29, v39, v44
	v_mul_f16_sdwa v48, v31, v41 dst_sel:DWORD dst_unused:UNUSED_PAD src0_sel:WORD_1 src1_sel:DWORD
	v_mul_f16_sdwa v38, v31, v10 dst_sel:DWORD dst_unused:UNUSED_PAD src0_sel:WORD_1 src1_sel:DWORD
	v_fma_f16 v7, v28, v7, -v43
	v_fma_f16 v9, v29, v9, -v45
	v_mul_f16_sdwa v44, v24, v32 dst_sel:DWORD dst_unused:UNUSED_PAD src0_sel:DWORD src1_sel:WORD_1
	v_mul_f16_sdwa v28, v23, v33 dst_sel:DWORD dst_unused:UNUSED_PAD src0_sel:DWORD src1_sel:WORD_1
	;; [unrolled: 1-line block ×4, first 2 shown]
	v_fma_f16 v10, v31, v10, -v48
	v_fma_f16 v31, v31, v41, v38
	v_fma_f16 v38, v11, v32, -v44
	v_fma_f16 v28, v12, v33, -v28
	v_fma_f16 v24, v24, v32, v29
	v_fma_f16 v23, v23, v33, v43
	v_add_f16_e32 v11, v7, v22
	v_add_f16_e32 v12, v7, v9
	;; [unrolled: 1-line block ×4, first 2 shown]
	v_sub_f16_e32 v7, v7, v9
	v_sub_f16_e32 v29, v35, v39
	v_add_f16_e32 v9, v11, v9
	v_fma_f16 v11, v12, -0.5, v22
	v_add_f16_e32 v12, v32, v39
	v_fma_f16 v21, v33, -0.5, v21
	v_mul_f16_sdwa v46, v30, v40 dst_sel:DWORD dst_unused:UNUSED_PAD src0_sel:WORD_1 src1_sel:DWORD
	v_pack_b32_f16 v9, v9, v12
	v_fma_f16 v12, v29, s4, v11
	v_fma_f16 v32, v7, s5, v21
	v_fma_f16 v11, v29, s5, v11
	v_fma_f16 v7, v7, s4, v21
	v_mul_f16_sdwa v47, v30, v8 dst_sel:DWORD dst_unused:UNUSED_PAD src0_sel:WORD_1 src1_sel:DWORD
	v_fma_f16 v8, v30, v8, -v46
	v_pack_b32_f16 v12, v12, v32
	v_pack_b32_f16 v7, v11, v7
	v_fma_f16 v30, v30, v40, v47
	ds_write2_b32 v34, v9, v12 offset1:7
	ds_write_b32 v34, v7 offset:56
	v_add_f16_e32 v7, v20, v8
	v_sub_f16_e32 v35, v30, v31
	v_add_f16_e32 v40, v42, v30
	v_add_f16_e32 v30, v30, v31
	;; [unrolled: 1-line block ×4, first 2 shown]
	v_sub_f16_e32 v7, v8, v10
	v_add_f16_e32 v10, v19, v24
	v_fma_f16 v22, v30, -0.5, v42
	v_fma_f16 v30, v41, -0.5, v20
	v_add_f16_e32 v9, v38, v28
	v_add_f16_e32 v21, v10, v23
	;; [unrolled: 1-line block ×4, first 2 shown]
	v_fma_f16 v12, v7, s5, v22
	v_fma_f16 v11, v35, s4, v30
	v_add_f16_e32 v8, v18, v38
	v_fma_f16 v9, v9, -0.5, v18
	v_fma_f16 v10, v10, -0.5, v19
	v_mad_u32_u24 v18, v36, s6, 0
	v_lshlrev_b32_sdwa v19, v27, v37 dst_sel:DWORD dst_unused:UNUSED_PAD src0_sel:DWORD src1_sel:BYTE_0
	v_fma_f16 v20, v7, s4, v22
	v_fma_f16 v7, v35, s5, v30
	v_add_f16_e32 v8, v8, v28
	v_sub_f16_e32 v22, v24, v23
	v_sub_f16_e32 v23, v38, v28
	v_add3_u32 v24, v18, v19, v16
	v_pack_b32_f16 v19, v29, v31
	v_pack_b32_f16 v28, v11, v12
	v_fma_f16 v18, v22, s4, v9
	ds_write2_b32 v24, v19, v28 offset1:7
	v_fma_f16 v19, v23, s5, v10
	v_pack_b32_f16 v28, v7, v20
	ds_write_b32 v24, v28 offset:56
	s_and_saveexec_b64 s[4:5], s[0:1]
	s_cbranch_execz .LBB0_16
; %bb.15:
	v_mul_f16_e32 v22, 0x3aee, v22
	v_mul_f16_e32 v23, 0x3aee, v23
	v_add_f16_e32 v10, v23, v10
	v_sub_f16_e32 v9, v9, v22
	v_mad_u32_u24 v22, v25, s6, 0
	v_lshlrev_b32_sdwa v23, v27, v26 dst_sel:DWORD dst_unused:UNUSED_PAD src0_sel:DWORD src1_sel:BYTE_0
	s_mov_b32 s0, 0x5040100
	v_add3_u32 v22, v22, v23, v16
	v_perm_b32 v23, v21, v8, s0
	v_perm_b32 v24, v19, v18, s0
	v_pack_b32_f16 v9, v9, v10
	ds_write2_b32 v22, v23, v24 offset1:7
	ds_write_b32 v22, v9 offset:56
.LBB0_16:
	s_or_b64 exec, exec, s[4:5]
	v_add_u32_e32 v24, 0x200, v1
	s_waitcnt lgkmcnt(0)
	s_barrier
	ds_read2_b32 v[9:10], v24 offset0:19 offset1:166
	ds_read_b32 v22, v13
	ds_read_b32 v23, v1 offset:1764
	v_cmp_gt_u32_e64 s[0:1], 63, v0
	s_and_saveexec_b64 s[4:5], s[0:1]
	s_cbranch_execz .LBB0_18
; %bb.17:
	ds_read_b32 v11, v15
	ds_read2_b32 v[7:8], v24 offset0:103 offset1:250
	ds_read_b32 v18, v1 offset:2100
	s_waitcnt lgkmcnt(2)
	v_lshrrev_b32_e32 v12, 16, v11
	s_waitcnt lgkmcnt(1)
	v_lshrrev_b32_e32 v20, 16, v7
	v_lshrrev_b32_e32 v21, 16, v8
	s_waitcnt lgkmcnt(0)
	v_lshrrev_b32_e32 v19, 16, v18
.LBB0_18:
	s_or_b64 exec, exec, s[4:5]
	s_movk_i32 s6, 0x87
	v_mul_lo_u16_sdwa v24, v0, s6 dst_sel:DWORD dst_unused:UNUSED_PAD src0_sel:BYTE_0 src1_sel:DWORD
	v_sub_u16_sdwa v25, v0, v24 dst_sel:DWORD dst_unused:UNUSED_PAD src0_sel:DWORD src1_sel:BYTE_1
	v_lshrrev_b16_e32 v25, 1, v25
	v_and_b32_e32 v25, 0x7f, v25
	v_add_u16_sdwa v24, v25, v24 dst_sel:DWORD dst_unused:UNUSED_PAD src0_sel:DWORD src1_sel:BYTE_1
	v_lshrrev_b16_e32 v24, 4, v24
	v_and_b32_e32 v29, 15, v24
	v_mul_lo_u16_e32 v24, 21, v29
	v_sub_u16_e32 v30, v0, v24
	v_mov_b32_e32 v24, 3
	v_mul_u32_u24_sdwa v25, v30, v24 dst_sel:DWORD dst_unused:UNUSED_PAD src0_sel:BYTE_0 src1_sel:DWORD
	v_lshlrev_b32_e32 v25, 2, v25
	global_load_dwordx3 v[26:28], v25, s[8:9] offset:56
	s_movk_i32 s7, 0x150
	v_mov_b32_e32 v25, 2
	v_and_b32_e32 v29, 0xffff, v29
	s_waitcnt lgkmcnt(2)
	v_lshrrev_b32_e32 v32, 16, v9
	v_lshrrev_b32_e32 v33, 16, v10
	s_waitcnt lgkmcnt(0)
	v_lshrrev_b32_e32 v34, 16, v23
	v_mad_u32_u24 v29, v29, s7, 0
	v_lshlrev_b32_sdwa v30, v25, v30 dst_sel:DWORD dst_unused:UNUSED_PAD src0_sel:DWORD src1_sel:BYTE_0
	v_add3_u32 v29, v29, v30, v16
	v_lshrrev_b32_e32 v31, 16, v22
	s_waitcnt vmcnt(0)
	s_barrier
	v_mul_f16_sdwa v30, v26, v32 dst_sel:DWORD dst_unused:UNUSED_PAD src0_sel:WORD_1 src1_sel:DWORD
	v_mul_f16_sdwa v35, v26, v9 dst_sel:DWORD dst_unused:UNUSED_PAD src0_sel:WORD_1 src1_sel:DWORD
	;; [unrolled: 1-line block ×6, first 2 shown]
	v_fma_f16 v9, v26, v9, -v30
	v_fma_f16 v26, v26, v32, v35
	v_fma_f16 v10, v27, v10, -v36
	v_fma_f16 v27, v27, v33, v37
	;; [unrolled: 2-line block ×3, first 2 shown]
	v_sub_f16_e32 v10, v22, v10
	v_sub_f16_e32 v27, v31, v27
	;; [unrolled: 1-line block ×4, first 2 shown]
	v_fma_f16 v22, v22, 2.0, -v10
	v_fma_f16 v30, v31, 2.0, -v27
	;; [unrolled: 1-line block ×4, first 2 shown]
	v_sub_f16_e32 v28, v10, v28
	v_add_f16_e32 v23, v27, v23
	v_sub_f16_e32 v9, v22, v9
	v_sub_f16_e32 v26, v30, v26
	v_fma_f16 v10, v10, 2.0, -v28
	v_fma_f16 v27, v27, 2.0, -v23
	v_pack_b32_f16 v23, v28, v23
	v_fma_f16 v22, v22, 2.0, -v9
	v_fma_f16 v28, v30, 2.0, -v26
	v_pack_b32_f16 v10, v10, v27
	v_pack_b32_f16 v22, v22, v28
	v_pack_b32_f16 v9, v9, v26
	ds_write2_b32 v29, v22, v10 offset1:21
	ds_write2_b32 v29, v9, v23 offset0:42 offset1:63
	s_and_saveexec_b64 s[4:5], s[0:1]
	s_cbranch_execz .LBB0_20
; %bb.19:
	v_mul_lo_u16_sdwa v9, v4, s6 dst_sel:DWORD dst_unused:UNUSED_PAD src0_sel:BYTE_0 src1_sel:DWORD
	v_sub_u16_sdwa v10, v4, v9 dst_sel:DWORD dst_unused:UNUSED_PAD src0_sel:DWORD src1_sel:BYTE_1
	v_lshrrev_b16_e32 v10, 1, v10
	v_and_b32_e32 v10, 0x7f, v10
	v_add_u16_sdwa v9, v10, v9 dst_sel:DWORD dst_unused:UNUSED_PAD src0_sel:DWORD src1_sel:BYTE_1
	v_lshrrev_b16_e32 v9, 4, v9
	v_and_b32_e32 v9, 15, v9
	v_mul_lo_u16_e32 v10, 21, v9
	v_sub_u16_e32 v10, v4, v10
	v_mul_u32_u24_sdwa v22, v10, v24 dst_sel:DWORD dst_unused:UNUSED_PAD src0_sel:BYTE_0 src1_sel:DWORD
	v_lshlrev_b32_e32 v22, 2, v22
	global_load_dwordx3 v[22:24], v22, s[8:9] offset:56
	v_and_b32_e32 v9, 0xffff, v9
	v_mad_u32_u24 v9, v9, s7, 0
	v_lshlrev_b32_sdwa v10, v25, v10 dst_sel:DWORD dst_unused:UNUSED_PAD src0_sel:DWORD src1_sel:BYTE_0
	v_add3_u32 v9, v9, v10, v16
	s_waitcnt vmcnt(0)
	v_mul_f16_sdwa v10, v21, v23 dst_sel:DWORD dst_unused:UNUSED_PAD src0_sel:DWORD src1_sel:WORD_1
	v_mul_f16_sdwa v25, v7, v22 dst_sel:DWORD dst_unused:UNUSED_PAD src0_sel:DWORD src1_sel:WORD_1
	;; [unrolled: 1-line block ×6, first 2 shown]
	v_fma_f16 v8, v8, v23, -v10
	v_fma_f16 v10, v20, v22, v25
	v_fma_f16 v19, v19, v24, v26
	v_fma_f16 v20, v21, v23, v27
	v_fma_f16 v7, v7, v22, -v28
	v_fma_f16 v18, v18, v24, -v29
	v_sub_f16_e32 v8, v11, v8
	v_sub_f16_e32 v19, v10, v19
	;; [unrolled: 1-line block ×4, first 2 shown]
	v_fma_f16 v11, v11, 2.0, -v8
	v_fma_f16 v7, v7, 2.0, -v18
	;; [unrolled: 1-line block ×4, first 2 shown]
	v_sub_f16_e32 v21, v8, v19
	v_add_f16_e32 v22, v20, v18
	v_sub_f16_e32 v7, v11, v7
	v_sub_f16_e32 v10, v12, v10
	v_fma_f16 v8, v8, 2.0, -v21
	v_fma_f16 v18, v20, 2.0, -v22
	;; [unrolled: 1-line block ×4, first 2 shown]
	v_pack_b32_f16 v8, v8, v18
	v_pack_b32_f16 v7, v7, v10
	;; [unrolled: 1-line block ×4, first 2 shown]
	ds_write2_b32 v9, v10, v8 offset1:21
	ds_write2_b32 v9, v7, v19 offset0:42 offset1:63
.LBB0_20:
	s_or_b64 exec, exec, s[4:5]
	v_mul_u32_u24_e32 v7, 6, v0
	v_lshlrev_b32_e32 v18, 2, v7
	s_waitcnt lgkmcnt(0)
	s_barrier
	global_load_dwordx4 v[7:10], v18, s[8:9] offset:308
	global_load_dwordx2 v[11:12], v18, s[8:9] offset:324
	v_add3_u32 v16, 0, v17, v16
	v_add_u32_e32 v17, 0x200, v1
	v_add_u32_e32 v20, 0x400, v1
	ds_read_b32 v21, v13
	ds_read_b32 v22, v15
	;; [unrolled: 1-line block ×3, first 2 shown]
	ds_read2_b32 v[16:17], v17 offset0:124 offset1:208
	ds_read2_b32 v[18:19], v20 offset0:164 offset1:248
	s_movk_i32 s0, 0x2b26
	s_waitcnt lgkmcnt(3)
	v_lshrrev_b32_e32 v24, 16, v22
	s_waitcnt lgkmcnt(2)
	v_lshrrev_b32_e32 v25, 16, v23
	;; [unrolled: 2-line block ×3, first 2 shown]
	v_lshrrev_b32_e32 v27, 16, v17
	s_waitcnt lgkmcnt(0)
	v_lshrrev_b32_e32 v28, 16, v18
	v_lshrrev_b32_e32 v29, 16, v19
	s_movk_i32 s1, 0x3b00
	s_mov_b32 s4, 0xbcab
	s_waitcnt vmcnt(0)
	s_barrier
	v_mul_f16_sdwa v30, v7, v24 dst_sel:DWORD dst_unused:UNUSED_PAD src0_sel:WORD_1 src1_sel:DWORD
	v_mul_f16_sdwa v31, v7, v22 dst_sel:DWORD dst_unused:UNUSED_PAD src0_sel:WORD_1 src1_sel:DWORD
	;; [unrolled: 1-line block ×12, first 2 shown]
	v_fma_f16 v22, v7, v22, -v30
	v_fma_f16 v7, v7, v24, v31
	v_fma_f16 v23, v8, v23, -v32
	v_fma_f16 v8, v8, v25, v33
	;; [unrolled: 2-line block ×6, first 2 shown]
	v_add_f16_e32 v24, v22, v19
	v_add_f16_e32 v25, v7, v12
	v_sub_f16_e32 v19, v22, v19
	v_sub_f16_e32 v7, v7, v12
	v_add_f16_e32 v12, v23, v18
	v_add_f16_e32 v22, v8, v11
	v_sub_f16_e32 v18, v23, v18
	v_sub_f16_e32 v8, v8, v11
	;; [unrolled: 4-line block ×4, first 2 shown]
	v_sub_f16_e32 v24, v24, v11
	v_sub_f16_e32 v25, v25, v23
	v_add_f16_e32 v28, v16, v18
	v_sub_f16_e32 v12, v11, v12
	v_sub_f16_e32 v22, v23, v22
	;; [unrolled: 1-line block ×5, first 2 shown]
	v_add_f16_e32 v10, v11, v10
	v_add_f16_e32 v11, v23, v17
	;; [unrolled: 1-line block ×3, first 2 shown]
	v_mul_f16_e32 v19, 0x3a52, v24
	v_mul_f16_e32 v23, 0x3a52, v25
	;; [unrolled: 1-line block ×4, first 2 shown]
	v_fma_f16 v12, v12, s0, v19
	v_fma_f16 v22, v22, s0, v23
	s_movk_i32 s0, 0x39e0
	v_add_f16_e32 v29, v9, v8
	v_sub_f16_e32 v31, v9, v8
	v_fma_f16 v24, v26, s0, -v24
	v_fma_f16 v25, v27, s0, -v25
	s_mov_b32 s0, 0xb9e0
	v_sub_f16_e32 v9, v7, v9
	v_sub_f16_e32 v8, v8, v7
	v_add_f16_e32 v7, v29, v7
	v_mul_f16_e32 v28, 0xb846, v30
	v_mul_f16_e32 v29, 0xb846, v31
	v_fma_f16 v19, v26, s0, -v19
	v_fma_f16 v23, v27, s0, -v23
	s_movk_i32 s0, 0x3574
	v_mul_f16_e32 v30, 0x3b00, v18
	v_add_f16_e32 v31, v10, v21
	v_add_f16_sdwa v21, v11, v21 dst_sel:DWORD dst_unused:UNUSED_PAD src0_sel:DWORD src1_sel:WORD_1
	v_mul_f16_e32 v32, 0x3b00, v8
	v_fma_f16 v26, v16, s0, v28
	v_fma_f16 v27, v9, s0, v29
	s_mov_b32 s0, 0xb574
	v_fma_f16 v10, v10, s4, v31
	v_fma_f16 v11, v11, s4, v21
	v_fma_f16 v18, v18, s1, -v28
	v_fma_f16 v8, v8, s1, -v29
	;; [unrolled: 1-line block ×4, first 2 shown]
	s_movk_i32 s0, 0x370e
	v_add_f16_e32 v12, v12, v10
	v_add_f16_e32 v22, v22, v11
	;; [unrolled: 1-line block ×6, first 2 shown]
	v_fma_f16 v19, v17, s0, v26
	v_fma_f16 v23, v7, s0, v27
	;; [unrolled: 1-line block ×6, first 2 shown]
	v_add_f16_e32 v9, v23, v12
	v_sub_f16_e32 v17, v22, v19
	v_add_f16_e32 v26, v7, v10
	v_sub_f16_e32 v28, v24, v8
	v_add_f16_e32 v29, v18, v25
	v_add_f16_e32 v8, v8, v24
	v_sub_f16_e32 v18, v25, v18
	v_sub_f16_e32 v7, v10, v7
	v_add_f16_e32 v10, v16, v11
	v_sub_f16_e32 v27, v11, v16
	v_sub_f16_e32 v11, v12, v23
	v_add_f16_e32 v12, v19, v22
	v_pack_b32_f16 v16, v31, v21
	v_pack_b32_f16 v9, v9, v17
	;; [unrolled: 1-line block ×4, first 2 shown]
	ds_write2_b32 v1, v16, v9 offset1:84
	v_pack_b32_f16 v9, v26, v27
	v_pack_b32_f16 v16, v28, v29
	ds_write2_b32 v20, v8, v7 offset0:80 offset1:164
	v_pack_b32_f16 v7, v11, v12
	ds_write2_b32 v1, v9, v16 offset0:168 offset1:252
	ds_write_b32 v1, v7 offset:2016
	s_waitcnt lgkmcnt(0)
	s_barrier
	ds_read_b32 v7, v13
	v_sub_u32_e32 v8, v14, v5
	v_cmp_ne_u32_e64 s[0:1], 0, v0
                                        ; implicit-def: $vgpr9
                                        ; implicit-def: $vgpr1
	s_and_saveexec_b64 s[4:5], s[0:1]
	s_xor_b64 s[4:5], exec, s[4:5]
	s_cbranch_execz .LBB0_22
; %bb.21:
	v_mov_b32_e32 v1, 0
	v_lshlrev_b64 v[9:10], 2, v[0:1]
	v_mov_b32_e32 v1, s9
	v_add_co_u32_e64 v9, s[0:1], s8, v9
	v_addc_co_u32_e64 v10, s[0:1], v1, v10, s[0:1]
	global_load_dword v5, v[9:10], off offset:2324
	ds_read_b32 v1, v8 offset:2352
	s_waitcnt lgkmcnt(0)
	v_add_f16_e32 v9, v1, v7
	v_add_f16_sdwa v10, v1, v7 dst_sel:DWORD dst_unused:UNUSED_PAD src0_sel:WORD_1 src1_sel:WORD_1
	v_sub_f16_e32 v11, v7, v1
	v_sub_f16_sdwa v1, v7, v1 dst_sel:DWORD dst_unused:UNUSED_PAD src0_sel:WORD_1 src1_sel:WORD_1
	v_mul_f16_e32 v7, 0.5, v10
	v_mul_f16_e32 v10, 0.5, v11
	;; [unrolled: 1-line block ×3, first 2 shown]
	s_waitcnt vmcnt(0)
	v_lshrrev_b32_e32 v11, 16, v5
	v_mul_f16_e32 v12, v11, v10
	v_fma_f16 v16, v7, v11, v1
	v_fma_f16 v1, v7, v11, -v1
	v_fma_f16 v11, v9, 0.5, v12
	v_fma_f16 v16, -v5, v10, v16
	v_fma_f16 v9, v9, 0.5, -v12
	v_fma_f16 v10, -v5, v10, v1
	v_fma_f16 v1, v5, v7, v11
	ds_write_b16 v13, v16 offset:2
	v_fma_f16 v9, -v5, v7, v9
	ds_write_b16 v8, v10 offset:2354
                                        ; implicit-def: $vgpr7
.LBB0_22:
	s_andn2_saveexec_b64 s[0:1], s[4:5]
	s_cbranch_execz .LBB0_24
; %bb.23:
	v_mov_b32_e32 v1, 0
	ds_write_b16 v13, v1 offset:2
	ds_write_b16 v8, v1 offset:2354
	ds_read_u16 v5, v14 offset:1178
	s_waitcnt lgkmcnt(3)
	v_add_f16_sdwa v1, v7, v7 dst_sel:DWORD dst_unused:UNUSED_PAD src0_sel:WORD_1 src1_sel:DWORD
	v_sub_f16_sdwa v9, v7, v7 dst_sel:DWORD dst_unused:UNUSED_PAD src0_sel:DWORD src1_sel:WORD_1
	s_waitcnt lgkmcnt(0)
	v_xor_b32_e32 v5, 0x8000, v5
	ds_write_b16 v14, v5 offset:1178
.LBB0_24:
	s_or_b64 exec, exec, s[0:1]
	v_mov_b32_e32 v5, 0
	v_lshlrev_b64 v[10:11], 2, v[4:5]
	v_mov_b32_e32 v4, s9
	v_add_co_u32_e64 v10, s[0:1], s8, v10
	v_addc_co_u32_e64 v11, s[0:1], v4, v11, s[0:1]
	global_load_dword v12, v[10:11], off offset:2324
	s_waitcnt lgkmcnt(0)
	v_mov_b32_e32 v7, v5
	v_lshlrev_b64 v[10:11], 2, v[6:7]
	s_mov_b32 s6, 0xffff
	v_add_co_u32_e64 v10, s[0:1], s8, v10
	v_addc_co_u32_e64 v11, s[0:1], v4, v11, s[0:1]
	global_load_dword v4, v[10:11], off offset:2324
	ds_write_b16 v13, v1
	ds_write_b16 v8, v9 offset:2352
	ds_read_b32 v1, v15
	ds_read_b32 v7, v8 offset:2016
	v_lshl_add_u32 v6, v6, 2, v14
	v_cmp_gt_u32_e64 s[0:1], 42, v0
	s_waitcnt lgkmcnt(0)
	v_pk_add_f16 v9, v1, v7 neg_lo:[0,1] neg_hi:[0,1]
	v_pk_add_f16 v1, v1, v7
	v_bfi_b32 v7, s6, v9, v1
	v_bfi_b32 v1, s6, v1, v9
	v_pk_mul_f16 v7, v7, 0.5 op_sel_hi:[1,0]
	v_pk_mul_f16 v1, v1, 0.5 op_sel_hi:[1,0]
	s_waitcnt vmcnt(1)
	v_pk_fma_f16 v9, v12, v7, v1 op_sel:[1,0,0]
	v_pk_mul_f16 v10, v12, v7 op_sel_hi:[0,1]
	v_pk_fma_f16 v11, v12, v7, v1 op_sel:[1,0,0] neg_lo:[1,0,0] neg_hi:[1,0,0]
	v_pk_fma_f16 v1, v12, v7, v1 op_sel:[1,0,0] neg_lo:[0,0,1] neg_hi:[0,0,1]
	v_pk_add_f16 v7, v9, v10 op_sel:[0,1] op_sel_hi:[1,0]
	v_pk_add_f16 v9, v9, v10 op_sel:[0,1] op_sel_hi:[1,0] neg_lo:[0,1] neg_hi:[0,1]
	v_pk_add_f16 v11, v11, v10 op_sel:[0,1] op_sel_hi:[1,0] neg_lo:[0,1] neg_hi:[0,1]
	;; [unrolled: 1-line block ×3, first 2 shown]
	v_bfi_b32 v7, s6, v7, v9
	v_bfi_b32 v1, s6, v11, v1
	ds_write_b32 v15, v7
	ds_write_b32 v8, v1 offset:2016
	ds_read_b32 v1, v6
	ds_read_b32 v7, v8 offset:1680
	s_waitcnt lgkmcnt(0)
	v_pk_add_f16 v9, v1, v7 neg_lo:[0,1] neg_hi:[0,1]
	v_pk_add_f16 v1, v1, v7
	v_bfi_b32 v7, s6, v9, v1
	v_bfi_b32 v1, s6, v1, v9
	v_pk_mul_f16 v7, v7, 0.5 op_sel_hi:[1,0]
	v_pk_mul_f16 v1, v1, 0.5 op_sel_hi:[1,0]
	s_waitcnt vmcnt(0)
	v_pk_fma_f16 v9, v4, v7, v1 op_sel:[1,0,0]
	v_pk_mul_f16 v10, v4, v7 op_sel_hi:[0,1]
	v_pk_fma_f16 v11, v4, v7, v1 op_sel:[1,0,0] neg_lo:[1,0,0] neg_hi:[1,0,0]
	v_pk_fma_f16 v1, v4, v7, v1 op_sel:[1,0,0] neg_lo:[0,0,1] neg_hi:[0,0,1]
	v_pk_add_f16 v4, v9, v10 op_sel:[0,1] op_sel_hi:[1,0]
	v_pk_add_f16 v7, v9, v10 op_sel:[0,1] op_sel_hi:[1,0] neg_lo:[0,1] neg_hi:[0,1]
	v_pk_add_f16 v9, v11, v10 op_sel:[0,1] op_sel_hi:[1,0] neg_lo:[0,1] neg_hi:[0,1]
	;; [unrolled: 1-line block ×3, first 2 shown]
	v_bfi_b32 v4, s6, v4, v7
	v_bfi_b32 v1, s6, v9, v1
	ds_write_b32 v6, v4
	ds_write_b32 v8, v1 offset:1680
	s_and_saveexec_b64 s[4:5], s[0:1]
	s_cbranch_execz .LBB0_26
; %bb.25:
	v_mov_b32_e32 v1, v5
	s_add_u32 s0, s8, 0x914
	v_lshlrev_b64 v[4:5], 2, v[0:1]
	s_addc_u32 s1, s9, 0
	v_mov_b32_e32 v1, s1
	v_add_co_u32_e64 v4, s[0:1], s0, v4
	v_addc_co_u32_e64 v5, s[0:1], v1, v5, s[0:1]
	global_load_dword v1, v[4:5], off offset:1008
	ds_read_b32 v4, v13 offset:1008
	ds_read_b32 v5, v8 offset:1344
	s_waitcnt lgkmcnt(0)
	v_pk_add_f16 v6, v4, v5 neg_lo:[0,1] neg_hi:[0,1]
	v_pk_add_f16 v4, v4, v5
	v_bfi_b32 v5, s6, v6, v4
	v_bfi_b32 v4, s6, v4, v6
	v_pk_mul_f16 v5, v5, 0.5 op_sel_hi:[1,0]
	v_pk_mul_f16 v4, v4, 0.5 op_sel_hi:[1,0]
	s_waitcnt vmcnt(0)
	v_pk_fma_f16 v6, v1, v5, v4 op_sel:[1,0,0]
	v_pk_mul_f16 v7, v1, v5 op_sel_hi:[0,1]
	v_pk_fma_f16 v9, v1, v5, v4 op_sel:[1,0,0] neg_lo:[1,0,0] neg_hi:[1,0,0]
	v_pk_fma_f16 v1, v1, v5, v4 op_sel:[1,0,0] neg_lo:[0,0,1] neg_hi:[0,0,1]
	v_pk_add_f16 v4, v6, v7 op_sel:[0,1] op_sel_hi:[1,0]
	v_pk_add_f16 v5, v6, v7 op_sel:[0,1] op_sel_hi:[1,0] neg_lo:[0,1] neg_hi:[0,1]
	v_pk_add_f16 v6, v9, v7 op_sel:[0,1] op_sel_hi:[1,0] neg_lo:[0,1] neg_hi:[0,1]
	;; [unrolled: 1-line block ×3, first 2 shown]
	v_bfi_b32 v4, s6, v4, v5
	v_bfi_b32 v1, s6, v6, v1
	ds_write_b32 v13, v4 offset:1008
	ds_write_b32 v8, v1 offset:1344
.LBB0_26:
	s_or_b64 exec, exec, s[4:5]
	s_waitcnt lgkmcnt(0)
	s_barrier
	s_and_saveexec_b64 s[0:1], vcc
	s_cbranch_execz .LBB0_29
; %bb.27:
	v_mov_b32_e32 v1, 0
	v_mov_b32_e32 v6, s3
	v_add_co_u32_e32 v2, vcc, s2, v2
	ds_read2_b32 v[4:5], v13 offset1:84
	v_addc_co_u32_e32 v3, vcc, v6, v3, vcc
	v_lshlrev_b64 v[6:7], 2, v[0:1]
	ds_read2_b32 v[8:9], v13 offset0:168 offset1:252
	v_add_u32_e32 v1, 0x400, v13
	v_add_co_u32_e32 v6, vcc, v2, v6
	ds_read2_b32 v[10:11], v1 offset0:80 offset1:164
	v_addc_co_u32_e32 v7, vcc, v3, v7, vcc
	s_movk_i32 s0, 0x53
	ds_read_b32 v1, v13 offset:2016
	v_cmp_eq_u32_e32 vcc, s0, v0
	s_waitcnt lgkmcnt(3)
	global_store_dword v[6:7], v4, off
	global_store_dword v[6:7], v5, off offset:336
	s_waitcnt lgkmcnt(2)
	global_store_dword v[6:7], v8, off offset:672
	global_store_dword v[6:7], v9, off offset:1008
	s_waitcnt lgkmcnt(1)
	global_store_dword v[6:7], v10, off offset:1344
	;; [unrolled: 3-line block ×3, first 2 shown]
	s_and_b64 exec, exec, vcc
	s_cbranch_execz .LBB0_29
; %bb.28:
	ds_read_b32 v0, v13 offset:2020
	s_waitcnt lgkmcnt(0)
	global_store_dword v[2:3], v0, off offset:2352
.LBB0_29:
	s_endpgm
	.section	.rodata,"a",@progbits
	.p2align	6, 0x0
	.amdhsa_kernel fft_rtc_fwd_len588_factors_7_3_4_7_wgs_252_tpt_84_half_ip_CI_unitstride_sbrr_R2C_dirReg
		.amdhsa_group_segment_fixed_size 0
		.amdhsa_private_segment_fixed_size 0
		.amdhsa_kernarg_size 88
		.amdhsa_user_sgpr_count 6
		.amdhsa_user_sgpr_private_segment_buffer 1
		.amdhsa_user_sgpr_dispatch_ptr 0
		.amdhsa_user_sgpr_queue_ptr 0
		.amdhsa_user_sgpr_kernarg_segment_ptr 1
		.amdhsa_user_sgpr_dispatch_id 0
		.amdhsa_user_sgpr_flat_scratch_init 0
		.amdhsa_user_sgpr_private_segment_size 0
		.amdhsa_uses_dynamic_stack 0
		.amdhsa_system_sgpr_private_segment_wavefront_offset 0
		.amdhsa_system_sgpr_workgroup_id_x 1
		.amdhsa_system_sgpr_workgroup_id_y 0
		.amdhsa_system_sgpr_workgroup_id_z 0
		.amdhsa_system_sgpr_workgroup_info 0
		.amdhsa_system_vgpr_workitem_id 0
		.amdhsa_next_free_vgpr 49
		.amdhsa_next_free_sgpr 22
		.amdhsa_reserve_vcc 1
		.amdhsa_reserve_flat_scratch 0
		.amdhsa_float_round_mode_32 0
		.amdhsa_float_round_mode_16_64 0
		.amdhsa_float_denorm_mode_32 3
		.amdhsa_float_denorm_mode_16_64 3
		.amdhsa_dx10_clamp 1
		.amdhsa_ieee_mode 1
		.amdhsa_fp16_overflow 0
		.amdhsa_exception_fp_ieee_invalid_op 0
		.amdhsa_exception_fp_denorm_src 0
		.amdhsa_exception_fp_ieee_div_zero 0
		.amdhsa_exception_fp_ieee_overflow 0
		.amdhsa_exception_fp_ieee_underflow 0
		.amdhsa_exception_fp_ieee_inexact 0
		.amdhsa_exception_int_div_zero 0
	.end_amdhsa_kernel
	.text
.Lfunc_end0:
	.size	fft_rtc_fwd_len588_factors_7_3_4_7_wgs_252_tpt_84_half_ip_CI_unitstride_sbrr_R2C_dirReg, .Lfunc_end0-fft_rtc_fwd_len588_factors_7_3_4_7_wgs_252_tpt_84_half_ip_CI_unitstride_sbrr_R2C_dirReg
                                        ; -- End function
	.section	.AMDGPU.csdata,"",@progbits
; Kernel info:
; codeLenInByte = 5960
; NumSgprs: 26
; NumVgprs: 49
; ScratchSize: 0
; MemoryBound: 0
; FloatMode: 240
; IeeeMode: 1
; LDSByteSize: 0 bytes/workgroup (compile time only)
; SGPRBlocks: 3
; VGPRBlocks: 12
; NumSGPRsForWavesPerEU: 26
; NumVGPRsForWavesPerEU: 49
; Occupancy: 4
; WaveLimiterHint : 1
; COMPUTE_PGM_RSRC2:SCRATCH_EN: 0
; COMPUTE_PGM_RSRC2:USER_SGPR: 6
; COMPUTE_PGM_RSRC2:TRAP_HANDLER: 0
; COMPUTE_PGM_RSRC2:TGID_X_EN: 1
; COMPUTE_PGM_RSRC2:TGID_Y_EN: 0
; COMPUTE_PGM_RSRC2:TGID_Z_EN: 0
; COMPUTE_PGM_RSRC2:TIDIG_COMP_CNT: 0
	.type	__hip_cuid_491b0a1d5b9a33c0,@object ; @__hip_cuid_491b0a1d5b9a33c0
	.section	.bss,"aw",@nobits
	.globl	__hip_cuid_491b0a1d5b9a33c0
__hip_cuid_491b0a1d5b9a33c0:
	.byte	0                               ; 0x0
	.size	__hip_cuid_491b0a1d5b9a33c0, 1

	.ident	"AMD clang version 19.0.0git (https://github.com/RadeonOpenCompute/llvm-project roc-6.4.0 25133 c7fe45cf4b819c5991fe208aaa96edf142730f1d)"
	.section	".note.GNU-stack","",@progbits
	.addrsig
	.addrsig_sym __hip_cuid_491b0a1d5b9a33c0
	.amdgpu_metadata
---
amdhsa.kernels:
  - .args:
      - .actual_access:  read_only
        .address_space:  global
        .offset:         0
        .size:           8
        .value_kind:     global_buffer
      - .offset:         8
        .size:           8
        .value_kind:     by_value
      - .actual_access:  read_only
        .address_space:  global
        .offset:         16
        .size:           8
        .value_kind:     global_buffer
      - .actual_access:  read_only
        .address_space:  global
        .offset:         24
        .size:           8
        .value_kind:     global_buffer
      - .offset:         32
        .size:           8
        .value_kind:     by_value
      - .actual_access:  read_only
        .address_space:  global
        .offset:         40
        .size:           8
        .value_kind:     global_buffer
      - .actual_access:  read_only
        .address_space:  global
        .offset:         48
        .size:           8
        .value_kind:     global_buffer
      - .offset:         56
        .size:           4
        .value_kind:     by_value
      - .actual_access:  read_only
        .address_space:  global
        .offset:         64
        .size:           8
        .value_kind:     global_buffer
      - .actual_access:  read_only
        .address_space:  global
        .offset:         72
        .size:           8
        .value_kind:     global_buffer
      - .address_space:  global
        .offset:         80
        .size:           8
        .value_kind:     global_buffer
    .group_segment_fixed_size: 0
    .kernarg_segment_align: 8
    .kernarg_segment_size: 88
    .language:       OpenCL C
    .language_version:
      - 2
      - 0
    .max_flat_workgroup_size: 252
    .name:           fft_rtc_fwd_len588_factors_7_3_4_7_wgs_252_tpt_84_half_ip_CI_unitstride_sbrr_R2C_dirReg
    .private_segment_fixed_size: 0
    .sgpr_count:     26
    .sgpr_spill_count: 0
    .symbol:         fft_rtc_fwd_len588_factors_7_3_4_7_wgs_252_tpt_84_half_ip_CI_unitstride_sbrr_R2C_dirReg.kd
    .uniform_work_group_size: 1
    .uses_dynamic_stack: false
    .vgpr_count:     49
    .vgpr_spill_count: 0
    .wavefront_size: 64
amdhsa.target:   amdgcn-amd-amdhsa--gfx906
amdhsa.version:
  - 1
  - 2
...

	.end_amdgpu_metadata
